;; amdgpu-corpus repo=ROCm/rocFFT kind=compiled arch=gfx1030 opt=O3
	.text
	.amdgcn_target "amdgcn-amd-amdhsa--gfx1030"
	.amdhsa_code_object_version 6
	.protected	fft_rtc_back_len1170_factors_2_13_3_5_3_wgs_117_tpt_117_sp_ip_CI_unitstride_sbrr_dirReg ; -- Begin function fft_rtc_back_len1170_factors_2_13_3_5_3_wgs_117_tpt_117_sp_ip_CI_unitstride_sbrr_dirReg
	.globl	fft_rtc_back_len1170_factors_2_13_3_5_3_wgs_117_tpt_117_sp_ip_CI_unitstride_sbrr_dirReg
	.p2align	8
	.type	fft_rtc_back_len1170_factors_2_13_3_5_3_wgs_117_tpt_117_sp_ip_CI_unitstride_sbrr_dirReg,@function
fft_rtc_back_len1170_factors_2_13_3_5_3_wgs_117_tpt_117_sp_ip_CI_unitstride_sbrr_dirReg: ; @fft_rtc_back_len1170_factors_2_13_3_5_3_wgs_117_tpt_117_sp_ip_CI_unitstride_sbrr_dirReg
; %bb.0:
	s_clause 0x2
	s_load_dwordx4 s[8:11], s[4:5], 0x0
	s_load_dwordx2 s[2:3], s[4:5], 0x50
	s_load_dwordx2 s[12:13], s[4:5], 0x18
	v_mul_u32_u24_e32 v1, 0x231, v0
	v_mov_b32_e32 v3, 0
	v_add_nc_u32_sdwa v5, s6, v1 dst_sel:DWORD dst_unused:UNUSED_PAD src0_sel:DWORD src1_sel:WORD_1
	v_mov_b32_e32 v1, 0
	v_mov_b32_e32 v6, v3
	v_mov_b32_e32 v2, 0
	s_waitcnt lgkmcnt(0)
	v_cmp_lt_u64_e64 s0, s[10:11], 2
	s_and_b32 vcc_lo, exec_lo, s0
	s_cbranch_vccnz .LBB0_8
; %bb.1:
	s_load_dwordx2 s[0:1], s[4:5], 0x10
	v_mov_b32_e32 v1, 0
	s_add_u32 s6, s12, 8
	v_mov_b32_e32 v2, 0
	s_addc_u32 s7, s13, 0
	s_mov_b64 s[16:17], 1
	s_waitcnt lgkmcnt(0)
	s_add_u32 s14, s0, 8
	s_addc_u32 s15, s1, 0
.LBB0_2:                                ; =>This Inner Loop Header: Depth=1
	s_load_dwordx2 s[18:19], s[14:15], 0x0
                                        ; implicit-def: $vgpr7_vgpr8
	s_mov_b32 s0, exec_lo
	s_waitcnt lgkmcnt(0)
	v_or_b32_e32 v4, s19, v6
	v_cmpx_ne_u64_e32 0, v[3:4]
	s_xor_b32 s1, exec_lo, s0
	s_cbranch_execz .LBB0_4
; %bb.3:                                ;   in Loop: Header=BB0_2 Depth=1
	v_cvt_f32_u32_e32 v4, s18
	v_cvt_f32_u32_e32 v7, s19
	s_sub_u32 s0, 0, s18
	s_subb_u32 s20, 0, s19
	v_fmac_f32_e32 v4, 0x4f800000, v7
	v_rcp_f32_e32 v4, v4
	v_mul_f32_e32 v4, 0x5f7ffffc, v4
	v_mul_f32_e32 v7, 0x2f800000, v4
	v_trunc_f32_e32 v7, v7
	v_fmac_f32_e32 v4, 0xcf800000, v7
	v_cvt_u32_f32_e32 v7, v7
	v_cvt_u32_f32_e32 v4, v4
	v_mul_lo_u32 v8, s0, v7
	v_mul_hi_u32 v9, s0, v4
	v_mul_lo_u32 v10, s20, v4
	v_add_nc_u32_e32 v8, v9, v8
	v_mul_lo_u32 v9, s0, v4
	v_add_nc_u32_e32 v8, v8, v10
	v_mul_hi_u32 v10, v4, v9
	v_mul_lo_u32 v11, v4, v8
	v_mul_hi_u32 v12, v4, v8
	v_mul_hi_u32 v13, v7, v9
	v_mul_lo_u32 v9, v7, v9
	v_mul_hi_u32 v14, v7, v8
	v_mul_lo_u32 v8, v7, v8
	v_add_co_u32 v10, vcc_lo, v10, v11
	v_add_co_ci_u32_e32 v11, vcc_lo, 0, v12, vcc_lo
	v_add_co_u32 v9, vcc_lo, v10, v9
	v_add_co_ci_u32_e32 v9, vcc_lo, v11, v13, vcc_lo
	v_add_co_ci_u32_e32 v10, vcc_lo, 0, v14, vcc_lo
	v_add_co_u32 v8, vcc_lo, v9, v8
	v_add_co_ci_u32_e32 v9, vcc_lo, 0, v10, vcc_lo
	v_add_co_u32 v4, vcc_lo, v4, v8
	v_add_co_ci_u32_e32 v7, vcc_lo, v7, v9, vcc_lo
	v_mul_hi_u32 v8, s0, v4
	v_mul_lo_u32 v10, s20, v4
	v_mul_lo_u32 v9, s0, v7
	v_add_nc_u32_e32 v8, v8, v9
	v_mul_lo_u32 v9, s0, v4
	v_add_nc_u32_e32 v8, v8, v10
	v_mul_hi_u32 v10, v4, v9
	v_mul_lo_u32 v11, v4, v8
	v_mul_hi_u32 v12, v4, v8
	v_mul_hi_u32 v13, v7, v9
	v_mul_lo_u32 v9, v7, v9
	v_mul_hi_u32 v14, v7, v8
	v_mul_lo_u32 v8, v7, v8
	v_add_co_u32 v10, vcc_lo, v10, v11
	v_add_co_ci_u32_e32 v11, vcc_lo, 0, v12, vcc_lo
	v_add_co_u32 v9, vcc_lo, v10, v9
	v_add_co_ci_u32_e32 v9, vcc_lo, v11, v13, vcc_lo
	v_add_co_ci_u32_e32 v10, vcc_lo, 0, v14, vcc_lo
	v_add_co_u32 v8, vcc_lo, v9, v8
	v_add_co_ci_u32_e32 v9, vcc_lo, 0, v10, vcc_lo
	v_add_co_u32 v4, vcc_lo, v4, v8
	v_add_co_ci_u32_e32 v11, vcc_lo, v7, v9, vcc_lo
	v_mul_hi_u32 v13, v5, v4
	v_mad_u64_u32 v[9:10], null, v6, v4, 0
	v_mad_u64_u32 v[7:8], null, v5, v11, 0
	;; [unrolled: 1-line block ×3, first 2 shown]
	v_add_co_u32 v4, vcc_lo, v13, v7
	v_add_co_ci_u32_e32 v7, vcc_lo, 0, v8, vcc_lo
	v_add_co_u32 v4, vcc_lo, v4, v9
	v_add_co_ci_u32_e32 v4, vcc_lo, v7, v10, vcc_lo
	v_add_co_ci_u32_e32 v7, vcc_lo, 0, v12, vcc_lo
	v_add_co_u32 v4, vcc_lo, v4, v11
	v_add_co_ci_u32_e32 v9, vcc_lo, 0, v7, vcc_lo
	v_mul_lo_u32 v10, s19, v4
	v_mad_u64_u32 v[7:8], null, s18, v4, 0
	v_mul_lo_u32 v11, s18, v9
	v_sub_co_u32 v7, vcc_lo, v5, v7
	v_add3_u32 v8, v8, v11, v10
	v_sub_nc_u32_e32 v10, v6, v8
	v_subrev_co_ci_u32_e64 v10, s0, s19, v10, vcc_lo
	v_add_co_u32 v11, s0, v4, 2
	v_add_co_ci_u32_e64 v12, s0, 0, v9, s0
	v_sub_co_u32 v13, s0, v7, s18
	v_sub_co_ci_u32_e32 v8, vcc_lo, v6, v8, vcc_lo
	v_subrev_co_ci_u32_e64 v10, s0, 0, v10, s0
	v_cmp_le_u32_e32 vcc_lo, s18, v13
	v_cmp_eq_u32_e64 s0, s19, v8
	v_cndmask_b32_e64 v13, 0, -1, vcc_lo
	v_cmp_le_u32_e32 vcc_lo, s19, v10
	v_cndmask_b32_e64 v14, 0, -1, vcc_lo
	v_cmp_le_u32_e32 vcc_lo, s18, v7
	;; [unrolled: 2-line block ×3, first 2 shown]
	v_cndmask_b32_e64 v15, 0, -1, vcc_lo
	v_cmp_eq_u32_e32 vcc_lo, s19, v10
	v_cndmask_b32_e64 v7, v15, v7, s0
	v_cndmask_b32_e32 v10, v14, v13, vcc_lo
	v_add_co_u32 v13, vcc_lo, v4, 1
	v_add_co_ci_u32_e32 v14, vcc_lo, 0, v9, vcc_lo
	v_cmp_ne_u32_e32 vcc_lo, 0, v10
	v_cndmask_b32_e32 v8, v14, v12, vcc_lo
	v_cndmask_b32_e32 v10, v13, v11, vcc_lo
	v_cmp_ne_u32_e32 vcc_lo, 0, v7
	v_cndmask_b32_e32 v8, v9, v8, vcc_lo
	v_cndmask_b32_e32 v7, v4, v10, vcc_lo
.LBB0_4:                                ;   in Loop: Header=BB0_2 Depth=1
	s_andn2_saveexec_b32 s0, s1
	s_cbranch_execz .LBB0_6
; %bb.5:                                ;   in Loop: Header=BB0_2 Depth=1
	v_cvt_f32_u32_e32 v4, s18
	s_sub_i32 s1, 0, s18
	v_rcp_iflag_f32_e32 v4, v4
	v_mul_f32_e32 v4, 0x4f7ffffe, v4
	v_cvt_u32_f32_e32 v4, v4
	v_mul_lo_u32 v7, s1, v4
	v_mul_hi_u32 v7, v4, v7
	v_add_nc_u32_e32 v4, v4, v7
	v_mul_hi_u32 v4, v5, v4
	v_mul_lo_u32 v7, v4, s18
	v_add_nc_u32_e32 v8, 1, v4
	v_sub_nc_u32_e32 v7, v5, v7
	v_subrev_nc_u32_e32 v9, s18, v7
	v_cmp_le_u32_e32 vcc_lo, s18, v7
	v_cndmask_b32_e32 v7, v7, v9, vcc_lo
	v_cndmask_b32_e32 v4, v4, v8, vcc_lo
	v_cmp_le_u32_e32 vcc_lo, s18, v7
	v_add_nc_u32_e32 v8, 1, v4
	v_cndmask_b32_e32 v7, v4, v8, vcc_lo
	v_mov_b32_e32 v8, v3
.LBB0_6:                                ;   in Loop: Header=BB0_2 Depth=1
	s_or_b32 exec_lo, exec_lo, s0
	s_load_dwordx2 s[0:1], s[6:7], 0x0
	v_mul_lo_u32 v4, v8, s18
	v_mul_lo_u32 v11, v7, s19
	v_mad_u64_u32 v[9:10], null, v7, s18, 0
	s_add_u32 s16, s16, 1
	s_addc_u32 s17, s17, 0
	s_add_u32 s6, s6, 8
	s_addc_u32 s7, s7, 0
	;; [unrolled: 2-line block ×3, first 2 shown]
	v_add3_u32 v4, v10, v11, v4
	v_sub_co_u32 v5, vcc_lo, v5, v9
	v_sub_co_ci_u32_e32 v4, vcc_lo, v6, v4, vcc_lo
	s_waitcnt lgkmcnt(0)
	v_mul_lo_u32 v6, s1, v5
	v_mul_lo_u32 v4, s0, v4
	v_mad_u64_u32 v[1:2], null, s0, v5, v[1:2]
	v_cmp_ge_u64_e64 s0, s[16:17], s[10:11]
	s_and_b32 vcc_lo, exec_lo, s0
	v_add3_u32 v2, v6, v2, v4
	s_cbranch_vccnz .LBB0_9
; %bb.7:                                ;   in Loop: Header=BB0_2 Depth=1
	v_mov_b32_e32 v5, v7
	v_mov_b32_e32 v6, v8
	s_branch .LBB0_2
.LBB0_8:
	v_mov_b32_e32 v8, v6
	v_mov_b32_e32 v7, v5
.LBB0_9:
	s_lshl_b64 s[0:1], s[10:11], 3
	v_mul_hi_u32 v3, 0x2302303, v0
	s_add_u32 s0, s12, s0
	s_addc_u32 s1, s13, s1
	v_mov_b32_e32 v4, 0
	s_load_dwordx2 s[0:1], s[0:1], 0x0
	s_load_dwordx2 s[4:5], s[4:5], 0x20
	v_mov_b32_e32 v5, 0
                                        ; implicit-def: $vgpr22
                                        ; implicit-def: $vgpr15
	v_mul_u32_u24_e32 v3, 0x75, v3
	v_mov_b32_e32 v11, v5
	v_mov_b32_e32 v13, v5
	;; [unrolled: 1-line block ×6, first 2 shown]
	v_sub_nc_u32_e32 v24, v0, v3
	v_mov_b32_e32 v19, v4
	v_mov_b32_e32 v16, v4
	s_waitcnt lgkmcnt(0)
	v_mul_lo_u32 v6, s0, v8
	v_mul_lo_u32 v9, s1, v7
	v_mad_u64_u32 v[1:2], null, s0, v7, v[1:2]
	v_cmp_gt_u64_e32 vcc_lo, s[4:5], v[7:8]
                                        ; implicit-def: $vgpr7
	v_add3_u32 v2, v9, v2, v6
                                        ; implicit-def: $vgpr9
	v_lshlrev_b64 v[26:27], 3, v[1:2]
                                        ; implicit-def: $vgpr1
	s_and_saveexec_b32 s1, vcc_lo
	s_cbranch_execz .LBB0_11
; %bb.10:
	v_mov_b32_e32 v25, 0
	v_add_co_u32 v2, s0, s2, v26
	v_add_co_ci_u32_e64 v3, s0, s3, v27, s0
	v_lshlrev_b64 v[0:1], 3, v[24:25]
	v_add_co_u32 v2, s0, v2, v0
	v_add_co_ci_u32_e64 v3, s0, v3, v1, s0
	s_clause 0x1
	global_load_dwordx2 v[4:5], v[2:3], off
	global_load_dwordx2 v[10:11], v[2:3], off offset:936
	v_add_co_u32 v6, s0, 0x1000, v2
	v_add_co_ci_u32_e64 v7, s0, 0, v3, s0
	v_add_co_u32 v14, s0, 0x1800, v2
	v_add_co_ci_u32_e64 v15, s0, 0, v3, s0
	;; [unrolled: 2-line block ×3, first 2 shown]
	s_clause 0x1
	global_load_dwordx2 v[0:1], v[6:7], off offset:584
	global_load_dwordx2 v[12:13], v[2:3], off offset:1872
	v_add_co_u32 v2, s0, 0x2000, v2
	v_add_co_ci_u32_e64 v3, s0, 0, v3, s0
	s_clause 0x5
	global_load_dwordx2 v[6:7], v[6:7], off offset:1520
	global_load_dwordx2 v[8:9], v[14:15], off offset:408
	;; [unrolled: 1-line block ×6, first 2 shown]
.LBB0_11:
	s_or_b32 exec_lo, exec_lo, s1
	s_waitcnt vmcnt(7)
	v_sub_f32_e32 v2, v4, v0
	v_sub_f32_e32 v3, v5, v1
	s_waitcnt vmcnt(5)
	v_sub_f32_e32 v6, v10, v6
	v_sub_f32_e32 v7, v11, v7
	s_waitcnt vmcnt(2)
	v_sub_f32_e32 v14, v19, v14
	v_fma_f32 v0, v4, 2.0, -v2
	v_fma_f32 v1, v5, 2.0, -v3
	;; [unrolled: 1-line block ×3, first 2 shown]
	v_sub_f32_e32 v10, v12, v8
	v_fma_f32 v5, v11, 2.0, -v7
	v_sub_f32_e32 v11, v13, v9
	v_sub_f32_e32 v15, v20, v15
	s_waitcnt vmcnt(0)
	v_sub_f32_e32 v18, v16, v21
	v_fma_f32 v8, v12, 2.0, -v10
	v_fma_f32 v12, v19, 2.0, -v14
	;; [unrolled: 1-line block ×4, first 2 shown]
	v_sub_f32_e32 v19, v17, v22
	v_add_nc_u32_e32 v30, 0x75, v24
	v_add_nc_u32_e32 v25, 0xea, v24
	v_lshl_add_u32 v20, v24, 4, 0
	v_add_nc_u32_e32 v32, 0x15f, v24
	v_fma_f32 v16, v16, 2.0, -v18
	v_fma_f32 v17, v17, 2.0, -v19
	v_lshl_add_u32 v21, v30, 4, 0
	v_lshl_add_u32 v22, v25, 4, 0
	v_add_nc_u32_e32 v28, 0x1d40, v20
	v_cmp_gt_u32_e64 s0, 0x5a, v24
	v_lshl_add_u32 v23, v32, 4, 0
	ds_write2_b64 v20, v[0:1], v[2:3] offset1:1
	ds_write2_b64 v21, v[4:5], v[6:7] offset1:1
	;; [unrolled: 1-line block ×5, first 2 shown]
	s_waitcnt lgkmcnt(0)
	s_barrier
	buffer_gl0_inv
                                        ; implicit-def: $vgpr29
                                        ; implicit-def: $vgpr23
	s_and_saveexec_b32 s1, s0
	s_cbranch_execz .LBB0_13
; %bb.12:
	v_lshlrev_b32_e32 v0, 3, v24
	v_sub_nc_u32_e32 v28, v20, v0
	v_add_nc_u32_e32 v4, 0x400, v28
	v_add_nc_u32_e32 v8, 0x800, v28
	v_add_nc_u32_e32 v12, 0x1000, v28
	v_add_nc_u32_e32 v16, 0x1400, v28
	v_add_nc_u32_e32 v20, 0x1800, v28
	ds_read2_b64 v[0:3], v28 offset1:90
	ds_read2_b64 v[4:7], v4 offset0:52 offset1:142
	ds_read2_b64 v[8:11], v8 offset0:104 offset1:194
	;; [unrolled: 1-line block ×5, first 2 shown]
	ds_read_b64 v[28:29], v28 offset:8640
.LBB0_13:
	s_or_b32 exec_lo, exec_lo, s1
	v_and_b32_e32 v31, 1, v24
	v_mul_u32_u24_e32 v33, 12, v31
	v_lshlrev_b32_e32 v33, 3, v33
	s_clause 0x5
	global_load_dwordx4 v[45:48], v33, s[8:9]
	global_load_dwordx4 v[51:54], v33, s[8:9] offset:16
	global_load_dwordx4 v[55:58], v33, s[8:9] offset:32
	;; [unrolled: 1-line block ×5, first 2 shown]
	s_waitcnt vmcnt(0) lgkmcnt(0)
	s_barrier
	buffer_gl0_inv
	v_mul_f32_e32 v44, v3, v46
	v_mul_f32_e32 v46, v2, v46
	;; [unrolled: 1-line block ×14, first 2 shown]
	v_fma_f32 v50, v3, v45, -v46
	v_fmac_f32_e32 v42, v6, v51
	v_fma_f32 v6, v29, v69, -v70
	v_mul_f32_e32 v34, v21, v66
	v_mul_f32_e32 v66, v20, v66
	v_fmac_f32_e32 v44, v2, v45
	v_fmac_f32_e32 v43, v4, v47
	v_fma_f32 v49, v5, v47, -v48
	v_fma_f32 v48, v7, v51, -v52
	;; [unrolled: 1-line block ×3, first 2 shown]
	v_fmac_f32_e32 v41, v10, v55
	v_fma_f32 v46, v11, v55, -v56
	v_fmac_f32_e32 v33, v28, v69
	v_fma_f32 v9, v23, v67, -v68
	v_add_f32_e32 v55, v50, v6
	v_sub_f32_e32 v51, v50, v6
	v_mul_f32_e32 v39, v13, v58
	v_mul_f32_e32 v58, v12, v58
	;; [unrolled: 1-line block ×7, first 2 shown]
	v_fma_f32 v11, v21, v65, -v66
	v_fmac_f32_e32 v35, v22, v67
	v_add_f32_e32 v2, v44, v33
	v_sub_f32_e32 v4, v44, v33
	v_add_f32_e32 v56, v49, v9
	v_sub_f32_e32 v52, v49, v9
	v_mul_f32_e32 v71, 0xbf52af12, v51
	v_mul_f32_e32 v74, 0x3f116cb1, v55
	;; [unrolled: 1-line block ×7, first 2 shown]
	v_fmac_f32_e32 v40, v8, v53
	v_fma_f32 v45, v13, v57, -v58
	v_fmac_f32_e32 v38, v14, v59
	v_fmac_f32_e32 v37, v16, v61
	v_fma_f32 v14, v17, v61, -v62
	v_fma_f32 v13, v19, v63, -v64
	v_fmac_f32_e32 v34, v20, v65
	v_add_f32_e32 v3, v43, v35
	v_sub_f32_e32 v5, v43, v35
	v_add_f32_e32 v58, v48, v11
	v_sub_f32_e32 v53, v48, v11
	v_mul_f32_e32 v69, 0xbf6f5d39, v52
	v_mul_f32_e32 v73, 0xbeb58ec6, v56
	;; [unrolled: 1-line block ×6, first 2 shown]
	v_fma_f32 v16, 0x3f116cb1, v2, -v71
	v_fmamk_f32 v17, v4, 0xbf52af12, v74
	v_fma_f32 v105, 0x3df6dbef, v2, -v80
	v_fmamk_f32 v107, v4, 0xbf7e222b, v86
	;; [unrolled: 2-line block ×3, first 2 shown]
	v_fma_f32 v15, v15, v59, -v60
	v_fmac_f32_e32 v36, v18, v63
	v_add_f32_e32 v7, v42, v34
	v_sub_f32_e32 v8, v42, v34
	v_add_f32_e32 v60, v47, v13
	v_sub_f32_e32 v54, v47, v13
	v_mul_f32_e32 v68, 0xbe750f2a, v53
	v_mul_f32_e32 v72, 0xbf788fa5, v58
	v_mul_f32_e32 v79, 0x3f6f5d39, v53
	v_mul_f32_e32 v84, 0xbeb58ec6, v58
	v_mul_f32_e32 v92, 0x3eedf032, v53
	v_mul_f32_e32 v96, 0x3f62ad3f, v58
	v_fma_f32 v18, 0xbeb58ec6, v3, -v69
	v_fmamk_f32 v19, v5, 0xbf6f5d39, v73
	v_fma_f32 v106, 0xbf788fa5, v3, -v78
	v_fmamk_f32 v108, v5, 0xbe750f2a, v85
	;; [unrolled: 2-line block ×3, first 2 shown]
	v_add_f32_e32 v16, v0, v16
	v_add_f32_e32 v17, v1, v17
	;; [unrolled: 1-line block ×6, first 2 shown]
	v_fmac_f32_e32 v39, v12, v57
	v_add_f32_e32 v10, v40, v36
	v_sub_f32_e32 v12, v40, v36
	v_sub_f32_e32 v57, v46, v14
	v_add_f32_e32 v61, v46, v14
	v_mul_f32_e32 v66, 0x3f29c268, v54
	v_mul_f32_e32 v70, 0xbf3f9e67, v60
	;; [unrolled: 1-line block ×6, first 2 shown]
	v_fma_f32 v20, 0xbf788fa5, v7, -v68
	v_fmamk_f32 v21, v8, 0xbe750f2a, v72
	v_fma_f32 v109, 0xbeb58ec6, v7, -v79
	v_fmamk_f32 v110, v8, 0x3f6f5d39, v84
	;; [unrolled: 2-line block ×3, first 2 shown]
	v_add_f32_e32 v16, v18, v16
	v_add_f32_e32 v17, v19, v17
	;; [unrolled: 1-line block ×7, first 2 shown]
	v_sub_f32_e32 v23, v41, v37
	v_sub_f32_e32 v59, v45, v15
	v_add_f32_e32 v62, v45, v15
	v_mul_f32_e32 v65, 0x3f7e222b, v57
	v_mul_f32_e32 v67, 0x3df6dbef, v61
	;; [unrolled: 1-line block ×6, first 2 shown]
	v_fma_f32 v99, 0xbf3f9e67, v10, -v66
	v_fmamk_f32 v100, v12, 0x3f29c268, v70
	v_fma_f32 v111, 0x3f62ad3f, v10, -v77
	v_fmamk_f32 v112, v12, 0x3eedf032, v83
	;; [unrolled: 2-line block ×3, first 2 shown]
	v_add_f32_e32 v16, v20, v16
	v_add_f32_e32 v17, v21, v17
	;; [unrolled: 1-line block ×7, first 2 shown]
	v_sub_f32_e32 v29, v39, v38
	v_mul_f32_e32 v63, 0x3eedf032, v59
	v_mul_f32_e32 v64, 0x3f62ad3f, v62
	;; [unrolled: 1-line block ×6, first 2 shown]
	v_fma_f32 v101, 0x3df6dbef, v22, -v65
	v_fmamk_f32 v102, v23, 0x3f7e222b, v67
	v_fma_f32 v113, 0x3f116cb1, v22, -v76
	v_fmamk_f32 v114, v23, 0xbf52af12, v82
	v_fma_f32 v125, 0xbf788fa5, v22, -v88
	v_fmamk_f32 v126, v23, 0x3e750f2a, v94
	v_add_f32_e32 v16, v99, v16
	v_add_f32_e32 v17, v100, v17
	;; [unrolled: 1-line block ×6, first 2 shown]
	v_fma_f32 v103, 0x3f62ad3f, v28, -v63
	v_fmamk_f32 v104, v29, 0x3eedf032, v64
	v_fma_f32 v115, 0xbf3f9e67, v28, -v75
	v_fmamk_f32 v116, v29, 0xbf29c268, v81
	;; [unrolled: 2-line block ×3, first 2 shown]
	v_add_f32_e32 v16, v101, v16
	v_add_f32_e32 v17, v102, v17
	v_add_f32_e32 v99, v113, v18
	v_add_f32_e32 v100, v114, v19
	v_add_f32_e32 v101, v125, v20
	v_add_f32_e32 v102, v126, v21
	v_add_f32_e32 v18, v103, v16
	v_add_f32_e32 v19, v104, v17
	v_add_f32_e32 v20, v115, v99
	v_add_f32_e32 v21, v116, v100
	v_add_f32_e32 v16, v127, v101
	v_add_f32_e32 v17, v128, v102
	s_and_saveexec_b32 s1, s0
	s_cbranch_execz .LBB0_15
; %bb.14:
	v_mul_f32_e32 v101, 0xbf29c268, v4
	v_mul_f32_e32 v102, 0xbf29c268, v51
	;; [unrolled: 1-line block ×5, first 2 shown]
	v_fmamk_f32 v99, v55, 0xbf3f9e67, v101
	v_fma_f32 v100, 0xbf3f9e67, v2, -v102
	v_mul_f32_e32 v106, 0xbf52af12, v53
	v_fmamk_f32 v108, v56, 0x3df6dbef, v103
	v_fma_f32 v109, 0x3df6dbef, v3, -v104
	v_add_f32_e32 v99, v1, v99
	v_add_f32_e32 v100, v0, v100
	v_mul_f32_e32 v107, 0x3e750f2a, v12
	v_mul_f32_e32 v110, 0x3e750f2a, v54
	v_fmamk_f32 v111, v58, 0x3f116cb1, v105
	v_add_f32_e32 v99, v108, v99
	v_fma_f32 v108, 0x3f116cb1, v7, -v106
	v_add_f32_e32 v100, v109, v100
	v_fmamk_f32 v109, v60, 0xbf788fa5, v107
	v_fma_f32 v112, 0xbf788fa5, v10, -v110
	v_add_f32_e32 v99, v111, v99
	v_mul_f32_e32 v111, 0x3eedf032, v57
	v_add_f32_e32 v100, v108, v100
	v_mul_f32_e32 v108, 0x3eedf032, v23
	v_mul_f32_e32 v115, 0xbf788fa5, v55
	v_add_f32_e32 v99, v109, v99
	v_mul_f32_e32 v117, 0x3f62ad3f, v56
	v_add_f32_e32 v100, v112, v100
	v_fmamk_f32 v109, v61, 0x3f62ad3f, v108
	v_fma_f32 v112, 0x3f62ad3f, v22, -v111
	v_fmamk_f32 v116, v4, 0x3e750f2a, v115
	v_mul_f32_e32 v120, 0x3eedf032, v52
	v_fmamk_f32 v121, v5, 0xbeedf032, v117
	v_add_f32_e32 v99, v109, v99
	v_add_f32_e32 v109, v112, v100
	v_mul_f32_e32 v112, 0xbe750f2a, v51
	v_add_f32_e32 v116, v1, v116
	v_mul_f32_e32 v122, 0xbf3f9e67, v58
	v_fmamk_f32 v123, v3, 0x3f62ad3f, v120
	v_mul_f32_e32 v124, 0xbf29c268, v53
	v_fmamk_f32 v119, v2, 0xbf788fa5, v112
	v_add_f32_e32 v116, v121, v116
	v_fmamk_f32 v121, v8, 0x3f29c268, v122
	v_mul_f32_e32 v125, 0x3f116cb1, v60
	v_mul_f32_e32 v113, 0xbf6f5d39, v29
	v_add_f32_e32 v119, v0, v119
	v_mul_f32_e32 v114, 0xbf6f5d39, v59
	v_mul_f32_e32 v126, 0x3f52af12, v54
	v_add_f32_e32 v116, v121, v116
	v_fmamk_f32 v121, v12, 0xbf52af12, v125
	v_add_f32_e32 v119, v123, v119
	v_fmamk_f32 v123, v7, 0xbf3f9e67, v124
	v_mul_f32_e32 v127, 0xbeb58ec6, v61
	v_fmamk_f32 v100, v62, 0xbeb58ec6, v113
	v_fma_f32 v118, 0xbeb58ec6, v28, -v114
	v_mul_f32_e32 v128, 0xbf6f5d39, v57
	v_add_f32_e32 v119, v123, v119
	v_fmamk_f32 v123, v10, 0x3f116cb1, v126
	v_add_f32_e32 v116, v121, v116
	v_fmamk_f32 v121, v23, 0x3f6f5d39, v127
	v_fma_f32 v101, 0xbf3f9e67, v55, -v101
	v_add_f32_e32 v100, v100, v99
	v_add_f32_e32 v119, v123, v119
	v_fmamk_f32 v123, v22, 0xbeb58ec6, v128
	v_add_f32_e32 v99, v118, v109
	v_add_f32_e32 v109, v121, v116
	v_fmac_f32_e32 v102, 0xbf3f9e67, v2
	v_add_f32_e32 v101, v1, v101
	v_fma_f32 v103, 0x3df6dbef, v56, -v103
	v_mul_f32_e32 v121, 0x3f7e222b, v59
	v_add_f32_e32 v118, v123, v119
	v_add_f32_e32 v123, v0, v102
	v_fmac_f32_e32 v104, 0x3df6dbef, v3
	v_add_f32_e32 v101, v103, v101
	v_fma_f32 v103, 0x3f116cb1, v58, -v105
	v_fmamk_f32 v105, v28, 0x3df6dbef, v121
	v_fmac_f32_e32 v106, 0x3f116cb1, v7
	v_add_f32_e32 v104, v104, v123
	v_fma_f32 v107, 0xbf788fa5, v60, -v107
	v_add_f32_e32 v103, v103, v101
	v_add_f32_e32 v101, v105, v118
	v_mul_f32_e32 v105, 0xbf6f5d39, v4
	v_add_f32_e32 v104, v106, v104
	v_mul_f32_e32 v106, 0x3f29c268, v5
	;; [unrolled: 2-line block ×3, first 2 shown]
	v_sub_f32_e32 v98, v98, v105
	v_fma_f32 v105, 0x3f62ad3f, v61, -v108
	v_sub_f32_e32 v97, v97, v106
	v_mul_f32_e32 v106, 0x3eedf032, v8
	v_add_f32_e32 v93, v107, v93
	v_add_f32_e32 v98, v1, v98
	;; [unrolled: 1-line block ×3, first 2 shown]
	v_fma_f32 v105, 0xbeb58ec6, v62, -v113
	v_sub_f32_e32 v96, v96, v106
	v_mul_f32_e32 v106, 0x3f62ad3f, v7
	v_add_f32_e32 v97, v97, v98
	v_mul_f32_e32 v98, 0xbf3f9e67, v3
	v_add_f32_e32 v50, v1, v50
	v_add_f32_e32 v44, v0, v44
	v_mul_f32_e32 v58, 0x3df6dbef, v58
	v_add_f32_e32 v96, v96, v97
	v_mul_f32_e32 v97, 0xbf7e222b, v12
	v_add_f32_e32 v91, v98, v91
	v_add_f32_e32 v98, v0, v93
	;; [unrolled: 1-line block ×3, first 2 shown]
	v_mul_f32_e32 v103, 0x3df6dbef, v10
	v_sub_f32_e32 v95, v95, v97
	v_mul_f32_e32 v97, 0x3e750f2a, v23
	v_add_f32_e32 v91, v91, v98
	v_add_f32_e32 v98, v106, v92
	;; [unrolled: 1-line block ×4, first 2 shown]
	v_sub_f32_e32 v94, v94, v97
	v_mul_f32_e32 v96, 0xbf7e222b, v4
	v_add_f32_e32 v91, v98, v91
	v_mul_f32_e32 v97, 0xbe750f2a, v5
	v_add_f32_e32 v49, v50, v49
	v_add_f32_e32 v94, v94, v95
	v_mul_f32_e32 v95, 0xbf788fa5, v22
	v_add_f32_e32 v90, v90, v91
	v_sub_f32_e32 v86, v86, v96
	v_mul_f32_e32 v91, 0x3f52af12, v29
	v_sub_f32_e32 v85, v85, v97
	v_add_f32_e32 v88, v95, v88
	v_mul_f32_e32 v95, 0x3f116cb1, v28
	v_add_f32_e32 v86, v1, v86
	v_sub_f32_e32 v89, v89, v91
	v_mul_f32_e32 v91, 0x3f6f5d39, v8
	v_add_f32_e32 v88, v88, v90
	v_add_f32_e32 v87, v95, v87
	v_mul_f32_e32 v95, 0x3df6dbef, v2
	v_add_f32_e32 v86, v85, v86
	v_sub_f32_e32 v91, v84, v91
	v_add_f32_e32 v85, v89, v94
	v_add_f32_e32 v84, v87, v88
	v_mul_f32_e32 v88, 0x3eedf032, v12
	v_mul_f32_e32 v89, 0xbf788fa5, v3
	v_add_f32_e32 v80, v95, v80
	v_mul_f32_e32 v87, 0xbf52af12, v4
	v_add_f32_e32 v86, v91, v86
	v_sub_f32_e32 v83, v83, v88
	v_add_f32_e32 v78, v89, v78
	v_add_f32_e32 v80, v0, v80
	v_mul_f32_e32 v89, 0xbf6f5d39, v5
	v_sub_f32_e32 v74, v74, v87
	v_add_f32_e32 v83, v83, v86
	v_mul_f32_e32 v86, 0xbeb58ec6, v7
	v_add_f32_e32 v78, v78, v80
	v_mul_f32_e32 v80, 0xbf29c268, v29
	v_mul_f32_e32 v90, 0x3f116cb1, v2
	v_sub_f32_e32 v73, v73, v89
	v_add_f32_e32 v79, v86, v79
	v_mul_f32_e32 v86, 0xbe750f2a, v8
	v_sub_f32_e32 v80, v81, v80
	v_mul_f32_e32 v81, 0x3f62ad3f, v10
	v_add_f32_e32 v74, v1, v74
	v_add_f32_e32 v48, v49, v48
	;; [unrolled: 1-line block ×3, first 2 shown]
	v_mul_f32_e32 v91, 0xbeb58ec6, v3
	v_mul_f32_e32 v88, 0xbf52af12, v23
	v_add_f32_e32 v78, v79, v78
	v_mul_f32_e32 v79, 0x3f29c268, v12
	v_add_f32_e32 v77, v81, v77
	;; [unrolled: 2-line block ×3, first 2 shown]
	v_add_f32_e32 v73, v73, v74
	v_sub_f32_e32 v72, v72, v86
	v_add_f32_e32 v47, v48, v47
	v_add_f32_e32 v42, v43, v42
	v_sub_f32_e32 v82, v82, v88
	v_mul_f32_e32 v88, 0xbf788fa5, v7
	v_add_f32_e32 v77, v77, v78
	v_mul_f32_e32 v74, 0xbf3f9e67, v28
	v_add_f32_e32 v76, v89, v76
	v_add_f32_e32 v71, v0, v71
	;; [unrolled: 1-line block ×4, first 2 shown]
	v_sub_f32_e32 v70, v70, v79
	v_add_f32_e32 v46, v47, v46
	v_add_f32_e32 v40, v42, v40
	;; [unrolled: 1-line block ×3, first 2 shown]
	v_mul_f32_e32 v83, 0xbf3f9e67, v10
	v_mul_f32_e32 v81, 0x3f7e222b, v23
	v_add_f32_e32 v73, v76, v77
	v_add_f32_e32 v71, v86, v71
	;; [unrolled: 1-line block ×5, first 2 shown]
	v_mul_f32_e32 v72, 0x3f62ad3f, v55
	v_add_f32_e32 v45, v46, v45
	v_add_f32_e32 v40, v40, v41
	v_mul_f32_e32 v87, 0x3df6dbef, v22
	v_sub_f32_e32 v55, v67, v81
	v_add_f32_e32 v67, v68, v71
	v_add_f32_e32 v66, v83, v66
	;; [unrolled: 1-line block ×3, first 2 shown]
	v_fmamk_f32 v71, v4, 0x3eedf032, v72
	v_mul_f32_e32 v73, 0x3f116cb1, v56
	v_add_f32_e32 v45, v45, v15
	v_add_f32_e32 v39, v40, v39
	v_mul_f32_e32 v78, 0x3f62ad3f, v28
	v_mul_f32_e32 v90, 0x3eedf032, v29
	v_add_f32_e32 v56, v66, v67
	v_add_f32_e32 v65, v87, v65
	;; [unrolled: 1-line block ×3, first 2 shown]
	v_fmamk_f32 v67, v5, 0x3f52af12, v73
	v_add_f32_e32 v14, v45, v14
	v_add_f32_e32 v38, v39, v38
	v_fmac_f32_e32 v115, 0xbe750f2a, v4
	v_add_f32_e32 v55, v55, v70
	v_sub_f32_e32 v64, v64, v90
	v_add_f32_e32 v65, v65, v56
	v_add_f32_e32 v63, v78, v63
	;; [unrolled: 1-line block ×3, first 2 shown]
	v_fmamk_f32 v67, v8, 0x3f7e222b, v58
	v_mul_f32_e32 v60, 0xbeb58ec6, v60
	v_add_f32_e32 v13, v14, v13
	v_add_f32_e32 v14, v38, v37
	;; [unrolled: 1-line block ×3, first 2 shown]
	v_fmac_f32_e32 v117, 0x3eedf032, v5
	v_add_f32_e32 v56, v64, v55
	v_add_f32_e32 v55, v63, v65
	;; [unrolled: 1-line block ×3, first 2 shown]
	v_fmamk_f32 v64, v12, 0x3f6f5d39, v60
	v_mul_f32_e32 v61, 0xbf3f9e67, v61
	v_mul_f32_e32 v51, 0xbeedf032, v51
	v_add_f32_e32 v11, v13, v11
	v_add_f32_e32 v13, v14, v36
	;; [unrolled: 1-line block ×3, first 2 shown]
	v_fmac_f32_e32 v122, 0xbf29c268, v8
	v_fma_f32 v37, 0xbf788fa5, v2, -v112
	v_add_f32_e32 v50, v64, v63
	v_fmamk_f32 v63, v23, 0x3f29c268, v61
	v_fmamk_f32 v64, v2, 0x3f62ad3f, v51
	v_mul_f32_e32 v44, 0xbf52af12, v52
	v_add_f32_e32 v9, v11, v9
	v_add_f32_e32 v11, v13, v34
	;; [unrolled: 1-line block ×3, first 2 shown]
	v_fmac_f32_e32 v125, 0x3f52af12, v12
	v_add_f32_e32 v36, v0, v37
	v_fma_f32 v37, 0x3f62ad3f, v3, -v120
	v_add_f32_e32 v49, v63, v50
	v_add_f32_e32 v50, v0, v64
	v_fmamk_f32 v43, v3, 0x3f116cb1, v44
	v_mul_f32_e32 v48, 0xbf7e222b, v53
	v_add_f32_e32 v34, v9, v6
	v_add_f32_e32 v6, v11, v35
	;; [unrolled: 1-line block ×4, first 2 shown]
	v_fma_f32 v13, 0xbf3f9e67, v7, -v124
	v_fmac_f32_e32 v72, 0xbeedf032, v4
	v_fma_f32 v2, 0x3f62ad3f, v2, -v51
	v_mul_f32_e32 v52, 0xbf788fa5, v62
	v_add_f32_e32 v42, v43, v50
	v_fmamk_f32 v43, v7, 0x3df6dbef, v48
	v_mul_f32_e32 v47, 0xbf6f5d39, v54
	v_add_f32_e32 v33, v6, v33
	v_add_f32_e32 v6, v13, v11
	;; [unrolled: 1-line block ×3, first 2 shown]
	v_fmac_f32_e32 v73, 0xbf52af12, v5
	v_fma_f32 v5, 0x3f116cb1, v10, -v126
	v_add_f32_e32 v0, v0, v2
	v_fma_f32 v2, 0x3f116cb1, v3, -v44
	v_fmamk_f32 v41, v29, 0x3e750f2a, v52
	v_add_f32_e32 v42, v43, v42
	v_fmamk_f32 v43, v10, 0xbeb58ec6, v47
	v_mul_f32_e32 v40, 0xbf29c268, v57
	v_add_f32_e32 v1, v73, v1
	v_fmac_f32_e32 v58, 0xbf7e222b, v8
	v_add_f32_e32 v3, v5, v6
	v_add_f32_e32 v0, v2, v0
	v_fma_f32 v2, 0x3df6dbef, v7, -v48
	v_fma_f32 v5, 0xbeb58ec6, v22, -v128
	v_lshrrev_b32_e32 v6, 1, v24
	v_fmac_f32_e32 v110, 0xbf788fa5, v10
	v_add_f32_e32 v15, v41, v49
	v_add_f32_e32 v41, v43, v42
	v_fmamk_f32 v39, v22, 0xbf3f9e67, v40
	v_mul_f32_e32 v42, 0xbe750f2a, v59
	v_add_f32_e32 v1, v58, v1
	v_fmac_f32_e32 v60, 0xbf6f5d39, v12
	v_add_f32_e32 v0, v2, v0
	v_fma_f32 v2, 0xbeb58ec6, v10, -v47
	v_add_f32_e32 v3, v5, v3
	v_mul_u32_u24_e32 v5, 26, v6
	v_add_f32_e32 v104, v110, v104
	v_fmac_f32_e32 v111, 0x3f62ad3f, v22
	v_mul_f32_e32 v116, 0x3df6dbef, v62
	v_fmac_f32_e32 v127, 0xbf6f5d39, v23
	v_add_f32_e32 v38, v39, v41
	v_fmamk_f32 v39, v28, 0xbf788fa5, v42
	v_add_f32_e32 v1, v60, v1
	v_fmac_f32_e32 v61, 0xbf29c268, v23
	v_add_f32_e32 v0, v2, v0
	v_fma_f32 v2, 0xbf3f9e67, v22, -v40
	v_or_b32_e32 v5, v5, v31
	v_add_f32_e32 v104, v111, v104
	v_fmac_f32_e32 v114, 0xbeb58ec6, v28
	v_fmamk_f32 v119, v29, 0xbf7e222b, v116
	v_add_f32_e32 v4, v127, v9
	v_fmac_f32_e32 v116, 0x3f7e222b, v29
	v_fma_f32 v6, 0x3df6dbef, v28, -v121
	v_add_f32_e32 v14, v39, v38
	v_add_f32_e32 v7, v61, v1
	v_fmac_f32_e32 v52, 0xbe750f2a, v29
	v_add_f32_e32 v2, v2, v0
	v_fma_f32 v8, 0xbf788fa5, v28, -v42
	v_lshl_add_u32 v5, v5, 3, 0
	v_add_f32_e32 v69, v80, v82
	v_add_f32_e32 v92, v114, v104
	;; [unrolled: 1-line block ×7, first 2 shown]
	ds_write2_b64 v5, v[33:34], v[14:15] offset1:2
	ds_write2_b64 v5, v[55:56], v[68:69] offset0:4 offset1:6
	ds_write2_b64 v5, v[84:85], v[92:93] offset0:8 offset1:10
	;; [unrolled: 1-line block ×5, first 2 shown]
	ds_write_b64 v5, v[2:3] offset:192
.LBB0_15:
	s_or_b32 exec_lo, exec_lo, s1
	v_lshl_add_u32 v31, v24, 3, 0
	s_waitcnt lgkmcnt(0)
	s_barrier
	buffer_gl0_inv
	v_cmp_gt_u32_e64 s0, 39, v24
	v_add_nc_u32_e32 v0, 0x600, v31
	v_add_nc_u32_e32 v8, 0x1800, v31
	;; [unrolled: 1-line block ×3, first 2 shown]
	ds_read2_b64 v[4:7], v31 offset1:117
	ds_read2_b64 v[0:3], v0 offset0:42 offset1:198
	ds_read2_b64 v[12:15], v8 offset0:12 offset1:129
	;; [unrolled: 1-line block ×3, first 2 shown]
	ds_read_b64 v[22:23], v31 offset:8112
	s_and_saveexec_b32 s1, s0
	s_cbranch_execz .LBB0_17
; %bb.16:
	ds_read_b64 v[16:17], v31 offset:2808
	ds_read_b64 v[20:21], v31 offset:5928
	;; [unrolled: 1-line block ×3, first 2 shown]
.LBB0_17:
	s_or_b32 exec_lo, exec_lo, s1
	v_and_b32_e32 v28, 0xff, v24
	v_and_b32_e32 v29, 0xff, v30
	v_mov_b32_e32 v33, 0x4ec5
	v_mov_b32_e32 v44, 4
	;; [unrolled: 1-line block ×3, first 2 shown]
	v_mul_lo_u16 v28, 0x4f, v28
	v_mul_lo_u16 v29, 0x4f, v29
	v_lshrrev_b16 v34, 11, v28
	v_mul_u32_u24_sdwa v28, v25, v33 dst_sel:DWORD dst_unused:UNUSED_PAD src0_sel:WORD_0 src1_sel:DWORD
	v_lshrrev_b16 v35, 11, v29
	v_mul_u32_u24_sdwa v33, v32, v33 dst_sel:DWORD dst_unused:UNUSED_PAD src0_sel:WORD_0 src1_sel:DWORD
	v_mul_lo_u16 v29, v34, 26
	v_lshrrev_b32_e32 v52, 19, v28
	v_mul_lo_u16 v28, v35, 26
	v_mul_u32_u24_sdwa v34, v34, v56 dst_sel:DWORD dst_unused:UNUSED_PAD src0_sel:WORD_0 src1_sel:DWORD
	v_mul_u32_u24_sdwa v35, v35, v56 dst_sel:DWORD dst_unused:UNUSED_PAD src0_sel:WORD_0 src1_sel:DWORD
	v_sub_nc_u16 v53, v24, v29
	v_lshrrev_b32_e32 v29, 19, v33
	v_mul_lo_u16 v33, v52, 26
	v_sub_nc_u16 v54, v30, v28
	v_mul_u32_u24_e32 v52, 0x270, v52
	v_lshlrev_b32_sdwa v28, v44, v53 dst_sel:DWORD dst_unused:UNUSED_PAD src0_sel:DWORD src1_sel:BYTE_0
	v_mul_lo_u16 v40, v29, 26
	v_sub_nc_u16 v55, v25, v33
	v_lshlrev_b32_sdwa v41, v44, v54 dst_sel:DWORD dst_unused:UNUSED_PAD src0_sel:DWORD src1_sel:BYTE_0
	global_load_dwordx4 v[36:39], v28, s[8:9] offset:192
	v_sub_nc_u16 v33, v32, v40
	global_load_dwordx4 v[40:43], v41, s[8:9] offset:192
	v_lshlrev_b32_sdwa v28, v44, v55 dst_sel:DWORD dst_unused:UNUSED_PAD src0_sel:DWORD src1_sel:WORD_0
	v_lshlrev_b32_sdwa v48, v44, v33 dst_sel:DWORD dst_unused:UNUSED_PAD src0_sel:DWORD src1_sel:WORD_0
	s_clause 0x1
	global_load_dwordx4 v[44:47], v28, s[8:9] offset:192
	global_load_dwordx4 v[48:51], v48, s[8:9] offset:192
	v_mov_b32_e32 v28, 3
	s_waitcnt vmcnt(0) lgkmcnt(0)
	s_barrier
	buffer_gl0_inv
	v_lshlrev_b32_sdwa v53, v28, v53 dst_sel:DWORD dst_unused:UNUSED_PAD src0_sel:DWORD src1_sel:BYTE_0
	v_lshlrev_b32_sdwa v54, v28, v54 dst_sel:DWORD dst_unused:UNUSED_PAD src0_sel:DWORD src1_sel:BYTE_0
	v_lshlrev_b32_sdwa v55, v28, v55 dst_sel:DWORD dst_unused:UNUSED_PAD src0_sel:DWORD src1_sel:WORD_0
	v_add3_u32 v53, 0, v34, v53
	v_add3_u32 v54, 0, v35, v54
	;; [unrolled: 1-line block ×3, first 2 shown]
	v_mul_f32_e32 v55, v37, v3
	v_mul_f32_e32 v37, v37, v2
	;; [unrolled: 1-line block ×8, first 2 shown]
	v_fmac_f32_e32 v55, v36, v2
	v_mul_f32_e32 v59, v45, v11
	v_mul_f32_e32 v35, v21, v49
	;; [unrolled: 1-line block ×8, first 2 shown]
	v_fma_f32 v36, v36, v3, -v37
	v_fmac_f32_e32 v56, v38, v12
	v_fma_f32 v12, v38, v13, -v39
	v_fmac_f32_e32 v35, v20, v48
	v_fma_f32 v3, v21, v48, -v49
	v_fmac_f32_e32 v34, v18, v50
	v_fma_f32 v2, v19, v50, -v51
	v_fmac_f32_e32 v57, v40, v8
	v_fma_f32 v8, v40, v9, -v41
	v_fmac_f32_e32 v58, v42, v14
	v_fma_f32 v13, v42, v15, -v43
	v_fmac_f32_e32 v59, v44, v10
	v_fma_f32 v9, v44, v11, -v45
	v_fmac_f32_e32 v60, v46, v22
	v_fma_f32 v14, v46, v23, -v47
	v_add_f32_e32 v11, v55, v56
	v_add_f32_e32 v18, v5, v36
	;; [unrolled: 1-line block ×10, first 2 shown]
	v_sub_f32_e32 v15, v36, v12
	v_sub_f32_e32 v20, v55, v56
	v_add_f32_e32 v21, v6, v57
	v_add_f32_e32 v36, v7, v8
	v_sub_f32_e32 v41, v9, v14
	v_add_f32_e32 v42, v1, v9
	v_sub_f32_e32 v46, v3, v2
	v_sub_f32_e32 v48, v35, v34
	v_fma_f32 v4, -0.5, v11, v4
	v_add_f32_e32 v9, v18, v12
	v_fma_f32 v5, -0.5, v19, v5
	v_fma_f32 v18, -0.5, v45, v16
	v_fma_f32 v19, -0.5, v47, v17
	v_sub_f32_e32 v23, v8, v13
	v_sub_f32_e32 v38, v57, v58
	v_fma_f32 v6, -0.5, v22, v6
	v_fmac_f32_e32 v7, -0.5, v37
	v_add_f32_e32 v39, v0, v59
	v_sub_f32_e32 v44, v59, v60
	v_fma_f32 v0, -0.5, v40, v0
	v_fmac_f32_e32 v1, -0.5, v43
	v_add_f32_e32 v8, v10, v56
	v_add_f32_e32 v10, v21, v58
	;; [unrolled: 1-line block ×4, first 2 shown]
	v_fmamk_f32 v14, v15, 0xbf5db3d7, v4
	v_fmac_f32_e32 v4, 0x3f5db3d7, v15
	v_fmamk_f32 v15, v20, 0x3f5db3d7, v5
	v_fmac_f32_e32 v5, 0xbf5db3d7, v20
	;; [unrolled: 2-line block ×6, first 2 shown]
	v_add_f32_e32 v12, v39, v60
	v_fmamk_f32 v36, v41, 0xbf5db3d7, v0
	v_fmamk_f32 v37, v44, 0x3f5db3d7, v1
	v_fmac_f32_e32 v0, 0x3f5db3d7, v41
	v_fmac_f32_e32 v1, 0xbf5db3d7, v44
	ds_write2_b64 v53, v[8:9], v[14:15] offset1:26
	ds_write_b64 v53, v[4:5] offset:416
	ds_write2_b64 v54, v[10:11], v[22:23] offset1:26
	ds_write_b64 v54, v[6:7] offset:416
	;; [unrolled: 2-line block ×3, first 2 shown]
	s_and_saveexec_b32 s1, s0
	s_cbranch_execz .LBB0_19
; %bb.18:
	v_mul_lo_u16 v0, 0x4e, v29
	v_add_f32_e32 v1, v17, v3
	v_add_f32_e32 v3, v16, v35
	v_lshlrev_b32_sdwa v4, v28, v33 dst_sel:DWORD dst_unused:UNUSED_PAD src0_sel:DWORD src1_sel:WORD_0
	v_lshlrev_b32_sdwa v5, v28, v0 dst_sel:DWORD dst_unused:UNUSED_PAD src0_sel:DWORD src1_sel:WORD_0
	v_add_f32_e32 v1, v1, v2
	v_add_f32_e32 v0, v3, v34
	v_add3_u32 v2, 0, v4, v5
	ds_write2_b64 v2, v[0:1], v[20:21] offset1:26
	ds_write_b64 v2, v[18:19] offset:416
.LBB0_19:
	s_or_b32 exec_lo, exec_lo, s1
	v_lshrrev_b16 v2, 1, v30
	v_add_nc_u32_e32 v0, 0xffffffb2, v24
	v_cmp_gt_u32_e64 s1, 0x4e, v24
	v_mov_b32_e32 v1, 0
	v_mov_b32_e32 v9, 5
	v_and_b32_e32 v2, 0x7f, v2
	s_waitcnt lgkmcnt(0)
	v_cndmask_b32_e64 v16, v0, v24, s1
	s_barrier
	buffer_gl0_inv
	v_mul_lo_u16 v2, 0xd3, v2
	v_add_nc_u32_e32 v23, 0x400, v31
	v_lshlrev_b32_e32 v0, 2, v16
	v_add_nc_u32_e32 v29, 0xc00, v31
	v_add_nc_u32_e32 v41, 0x1400, v31
	v_lshrrev_b16 v17, 13, v2
	v_lshlrev_b32_e32 v16, 3, v16
	v_lshlrev_b64 v[0:1], 3, v[0:1]
	v_add_nc_u32_e32 v54, 0x600, v31
	v_add_nc_u32_e32 v55, 0x1800, v31
	v_mul_lo_u16 v8, 0x4e, v17
	v_add_co_u32 v4, s1, s8, v0
	v_add_co_ci_u32_e64 v5, s1, s9, v1, s1
	v_sub_nc_u16 v22, v30, v8
	v_cmp_lt_u32_e64 s1, 0x4d, v24
	s_clause 0x1
	global_load_dwordx4 v[0:3], v[4:5], off offset:608
	global_load_dwordx4 v[4:7], v[4:5], off offset:624
	v_lshlrev_b32_sdwa v12, v9, v22 dst_sel:DWORD dst_unused:UNUSED_PAD src0_sel:DWORD src1_sel:BYTE_0
	v_cndmask_b32_e64 v53, 0, 0xc30, s1
	v_lshlrev_b32_sdwa v22, v28, v22 dst_sel:DWORD dst_unused:UNUSED_PAD src0_sel:DWORD src1_sel:BYTE_0
	s_clause 0x1
	global_load_dwordx4 v[8:11], v12, s[8:9] offset:608
	global_load_dwordx4 v[12:15], v12, s[8:9] offset:624
	ds_read2_b64 v[33:36], v23 offset0:106 offset1:223
	v_add_nc_u32_e32 v23, 0x1c00, v31
	ds_read2_b64 v[37:40], v29 offset0:84 offset1:201
	ds_read2_b64 v[41:44], v41 offset0:62 offset1:179
	ds_read2_b64 v[45:48], v31 offset1:117
	ds_read2_b64 v[49:52], v23 offset0:40 offset1:157
	v_mov_b32_e32 v23, 0xc30
	s_waitcnt vmcnt(0) lgkmcnt(0)
	s_barrier
	buffer_gl0_inv
	v_mul_u32_u24_sdwa v17, v17, v23 dst_sel:DWORD dst_unused:UNUSED_PAD src0_sel:WORD_0 src1_sel:DWORD
	v_add3_u32 v23, 0, v53, v16
	v_add3_u32 v22, 0, v17, v22
	v_mul_f32_e32 v16, v1, v34
	v_mul_f32_e32 v1, v1, v33
	;; [unrolled: 1-line block ×8, first 2 shown]
	v_fmac_f32_e32 v16, v0, v33
	v_fma_f32 v0, v0, v34, -v1
	v_fmac_f32_e32 v17, v2, v37
	v_fma_f32 v1, v2, v38, -v3
	;; [unrolled: 2-line block ×4, first 2 shown]
	v_mul_f32_e32 v4, v9, v36
	v_mul_f32_e32 v2, v9, v35
	;; [unrolled: 1-line block ×8, first 2 shown]
	v_add_f32_e32 v13, v45, v16
	v_add_f32_e32 v15, v17, v28
	v_sub_f32_e32 v50, v17, v16
	v_sub_f32_e32 v56, v28, v53
	v_fmac_f32_e32 v4, v8, v35
	v_fmac_f32_e32 v9, v39, v10
	v_fma_f32 v10, v40, v10, -v3
	v_fmac_f32_e32 v11, v43, v12
	v_fma_f32 v35, v44, v12, -v6
	v_fmac_f32_e32 v34, v51, v14
	v_add_f32_e32 v49, v16, v53
	v_add_f32_e32 v57, v46, v0
	;; [unrolled: 1-line block ×3, first 2 shown]
	v_fma_f32 v8, v8, v36, -v2
	v_fma_f32 v36, v52, v14, -v7
	v_add_f32_e32 v62, v0, v33
	v_sub_f32_e32 v37, v0, v33
	v_sub_f32_e32 v41, v16, v17
	;; [unrolled: 1-line block ×8, first 2 shown]
	v_add_f32_e32 v6, v13, v17
	v_fma_f32 v0, -0.5, v15, v45
	v_add_f32_e32 v15, v50, v56
	v_add_f32_e32 v12, v47, v4
	;; [unrolled: 1-line block ×3, first 2 shown]
	v_sub_f32_e32 v17, v4, v9
	v_sub_f32_e32 v43, v34, v11
	v_add_f32_e32 v50, v10, v35
	v_sub_f32_e32 v38, v1, v5
	v_fma_f32 v2, -0.5, v49, v45
	v_add_f32_e32 v7, v57, v1
	v_fma_f32 v1, -0.5, v58, v46
	v_add_f32_e32 v44, v4, v34
	v_add_f32_e32 v49, v48, v8
	;; [unrolled: 1-line block ×3, first 2 shown]
	v_fma_f32 v3, -0.5, v62, v46
	v_add_f32_e32 v14, v41, v42
	v_add_f32_e32 v39, v16, v61
	v_sub_f32_e32 v41, v8, v36
	v_sub_f32_e32 v45, v9, v4
	;; [unrolled: 1-line block ×7, first 2 shown]
	v_add_f32_e32 v28, v6, v28
	v_add_f32_e32 v12, v12, v9
	v_fma_f32 v16, -0.5, v13, v47
	v_add_f32_e32 v43, v17, v43
	v_fma_f32 v17, -0.5, v50, v48
	v_sub_f32_e32 v42, v10, v35
	v_sub_f32_e32 v52, v9, v11
	v_add_f32_e32 v62, v7, v5
	v_fma_f32 v47, -0.5, v44, v47
	v_add_f32_e32 v13, v49, v10
	v_fmac_f32_e32 v48, -0.5, v58
	v_sub_f32_e32 v64, v5, v33
	v_fmamk_f32 v4, v37, 0xbf737871, v0
	v_fmamk_f32 v6, v38, 0x3f737871, v2
	v_fmac_f32_e32 v2, 0xbf737871, v38
	v_fmamk_f32 v5, v59, 0x3f737871, v1
	v_fmamk_f32 v7, v60, 0xbf737871, v3
	v_fmac_f32_e32 v3, 0x3f737871, v60
	v_fmac_f32_e32 v0, 0x3f737871, v37
	;; [unrolled: 1-line block ×3, first 2 shown]
	v_sub_f32_e32 v57, v36, v35
	v_add_f32_e32 v44, v45, v46
	v_add_f32_e32 v46, v8, v61
	;; [unrolled: 1-line block ×4, first 2 shown]
	v_fmamk_f32 v10, v41, 0xbf737871, v16
	v_fmamk_f32 v11, v51, 0x3f737871, v17
	v_add_f32_e32 v9, v62, v33
	v_fmamk_f32 v12, v42, 0x3f737871, v47
	v_fmac_f32_e32 v47, 0xbf737871, v42
	v_add_f32_e32 v33, v13, v35
	v_fmamk_f32 v13, v52, 0xbf737871, v48
	v_fmac_f32_e32 v48, 0x3f737871, v52
	v_fmac_f32_e32 v16, 0x3f737871, v41
	;; [unrolled: 1-line block ×3, first 2 shown]
	v_add_f32_e32 v40, v63, v64
	v_fmac_f32_e32 v4, 0xbf167918, v38
	v_fmac_f32_e32 v6, 0xbf167918, v37
	;; [unrolled: 1-line block ×8, first 2 shown]
	v_add_f32_e32 v45, v56, v57
	v_fmac_f32_e32 v10, 0xbf167918, v42
	v_fmac_f32_e32 v11, 0x3f167918, v52
	;; [unrolled: 1-line block ×16, first 2 shown]
	v_add_f32_e32 v14, v28, v34
	v_add_f32_e32 v15, v33, v36
	v_fmac_f32_e32 v10, 0x3e9e377a, v43
	v_fmac_f32_e32 v11, 0x3e9e377a, v45
	;; [unrolled: 1-line block ×8, first 2 shown]
	ds_write2_b64 v23, v[8:9], v[4:5] offset1:78
	ds_write2_b64 v23, v[6:7], v[2:3] offset0:156 offset1:234
	ds_write_b64 v23, v[0:1] offset:2496
	ds_write2_b64 v22, v[14:15], v[10:11] offset1:78
	ds_write2_b64 v22, v[12:13], v[47:48] offset0:156 offset1:234
	ds_write_b64 v22, v[16:17] offset:2496
	s_waitcnt lgkmcnt(0)
	s_barrier
	buffer_gl0_inv
	ds_read2_b64 v[0:3], v31 offset1:117
	ds_read2_b64 v[4:7], v54 offset0:42 offset1:198
	ds_read2_b64 v[8:11], v55 offset0:12 offset1:129
	;; [unrolled: 1-line block ×3, first 2 shown]
	ds_read_b64 v[28:29], v31 offset:8112
	s_and_saveexec_b32 s1, s0
	s_cbranch_execz .LBB0_21
; %bb.20:
	ds_read_b64 v[16:17], v31 offset:2808
	ds_read_b64 v[20:21], v31 offset:5928
	;; [unrolled: 1-line block ×3, first 2 shown]
.LBB0_21:
	s_or_b32 exec_lo, exec_lo, s1
	s_and_saveexec_b32 s1, vcc_lo
	s_cbranch_execz .LBB0_24
; %bb.22:
	v_mov_b32_e32 v23, 0
	v_lshlrev_b32_e32 v22, 1, v25
	v_lshlrev_b32_e32 v30, 1, v30
	;; [unrolled: 1-line block ×3, first 2 shown]
	v_mov_b32_e32 v31, v23
	v_lshlrev_b64 v[33:34], 3, v[22:23]
	v_mov_b32_e32 v36, v23
	v_lshlrev_b64 v[30:31], 3, v[30:31]
	v_add_co_u32 v22, vcc_lo, s8, v33
	v_add_co_ci_u32_e32 v34, vcc_lo, s9, v34, vcc_lo
	v_lshlrev_b64 v[37:38], 3, v[35:36]
	v_add_co_u32 v33, vcc_lo, 0x800, v22
	v_add_co_ci_u32_e32 v34, vcc_lo, 0, v34, vcc_lo
	v_add_co_u32 v22, vcc_lo, s8, v30
	v_add_co_ci_u32_e32 v31, vcc_lo, s9, v31, vcc_lo
	;; [unrolled: 2-line block ×4, first 2 shown]
	v_add_co_u32 v41, vcc_lo, 0x800, v37
	global_load_dwordx4 v[33:36], v[33:34], off offset:1056
	v_add_co_ci_u32_e32 v42, vcc_lo, 0, v38, vcc_lo
	s_clause 0x1
	global_load_dwordx4 v[37:40], v[30:31], off offset:1056
	global_load_dwordx4 v[41:44], v[41:42], off offset:1056
	v_lshrrev_b32_e32 v22, 1, v25
	v_mov_b32_e32 v25, v23
	v_mul_hi_u32 v22, 0xa80a80a9, v22
	v_lshlrev_b64 v[30:31], 3, v[24:25]
	v_add_co_u32 v25, vcc_lo, s2, v26
	v_add_co_ci_u32_e32 v26, vcc_lo, s3, v27, vcc_lo
	v_add_co_u32 v30, vcc_lo, v25, v30
	v_lshrrev_b32_e32 v22, 7, v22
	v_add_co_ci_u32_e32 v31, vcc_lo, v26, v31, vcc_lo
	v_add_co_u32 v25, vcc_lo, 0x800, v30
	v_mul_u32_u24_e32 v22, 0x30c, v22
	v_add_co_ci_u32_e32 v26, vcc_lo, 0, v31, vcc_lo
	v_lshlrev_b64 v[45:46], 3, v[22:23]
	v_add_co_u32 v45, vcc_lo, v30, v45
	v_add_co_ci_u32_e32 v46, vcc_lo, v31, v46, vcc_lo
	v_add_co_u32 v47, vcc_lo, 0x1800, v30
	v_add_co_ci_u32_e32 v48, vcc_lo, 0, v31, vcc_lo
	;; [unrolled: 2-line block ×4, first 2 shown]
	s_waitcnt vmcnt(2) lgkmcnt(1)
	v_mul_f32_e32 v22, v34, v14
	s_waitcnt lgkmcnt(0)
	v_mul_f32_e32 v27, v36, v28
	v_mul_f32_e32 v34, v34, v15
	;; [unrolled: 1-line block ×3, first 2 shown]
	v_fma_f32 v15, v33, v15, -v22
	v_fma_f32 v22, v35, v29, -v27
	v_fmac_f32_e32 v34, v33, v14
	v_fmac_f32_e32 v36, v35, v28
	s_waitcnt vmcnt(1)
	v_mul_f32_e32 v14, v38, v12
	v_mul_f32_e32 v27, v40, v10
	;; [unrolled: 1-line block ×4, first 2 shown]
	s_waitcnt vmcnt(0)
	v_mul_f32_e32 v33, v42, v6
	v_mul_f32_e32 v35, v44, v8
	v_mul_f32_e32 v38, v42, v7
	v_mul_f32_e32 v40, v44, v9
	v_add_f32_e32 v42, v15, v22
	v_sub_f32_e32 v54, v15, v22
	v_add_f32_e32 v15, v5, v15
	v_fmac_f32_e32 v28, v37, v12
	v_fmac_f32_e32 v29, v39, v10
	v_fma_f32 v10, v41, v7, -v33
	v_fma_f32 v12, v43, v9, -v35
	v_fmac_f32_e32 v38, v41, v6
	v_fmac_f32_e32 v40, v43, v8
	v_fma_f32 v13, v37, v13, -v14
	v_fma_f32 v11, v39, v11, -v27
	v_sub_f32_e32 v44, v34, v36
	v_add_f32_e32 v53, v34, v36
	v_add_f32_e32 v34, v4, v34
	;; [unrolled: 1-line block ×3, first 2 shown]
	v_sub_f32_e32 v22, v28, v29
	v_add_f32_e32 v15, v28, v29
	v_add_f32_e32 v27, v2, v28
	;; [unrolled: 1-line block ×6, first 2 shown]
	v_sub_f32_e32 v33, v13, v11
	v_add_f32_e32 v13, v3, v13
	v_sub_f32_e32 v34, v38, v40
	v_add_f32_e32 v37, v1, v10
	v_add_f32_e32 v38, v0, v38
	v_sub_f32_e32 v36, v10, v12
	v_fma_f32 v1, -0.5, v28, v1
	v_fma_f32 v0, -0.5, v35, v0
	;; [unrolled: 1-line block ×6, first 2 shown]
	v_add_f32_e32 v11, v13, v11
	v_add_f32_e32 v13, v37, v12
	;; [unrolled: 1-line block ×4, first 2 shown]
	v_fmamk_f32 v28, v34, 0xbf5db3d7, v1
	v_fmamk_f32 v27, v36, 0x3f5db3d7, v0
	v_fmac_f32_e32 v1, 0x3f5db3d7, v34
	v_fmac_f32_e32 v0, 0xbf5db3d7, v36
	v_fmamk_f32 v15, v22, 0xbf5db3d7, v3
	v_fmamk_f32 v14, v33, 0x3f5db3d7, v2
	v_fmac_f32_e32 v3, 0x3f5db3d7, v22
	v_fmac_f32_e32 v2, 0xbf5db3d7, v33
	;; [unrolled: 4-line block ×3, first 2 shown]
	global_store_dwordx2 v[30:31], v[12:13], off
	global_store_dwordx2 v[30:31], v[10:11], off offset:936
	global_store_dwordx2 v[25:26], v[0:1], off offset:1072
	global_store_dwordx2 v[47:48], v[27:28], off offset:96
	global_store_dwordx2 v[25:26], v[2:3], off offset:2008
	global_store_dwordx2 v[47:48], v[14:15], off offset:1032
	global_store_dwordx2 v[45:46], v[6:7], off offset:1872
	global_store_dwordx2 v[49:50], v[4:5], off offset:896
	global_store_dwordx2 v[51:52], v[8:9], off offset:1968
	s_and_b32 exec_lo, exec_lo, s0
	s_cbranch_execz .LBB0_24
; %bb.23:
	v_subrev_nc_u32_e32 v0, 39, v24
	v_cndmask_b32_e64 v0, v0, v32, s0
	v_lshlrev_b32_e32 v22, 1, v0
	v_lshlrev_b64 v[0:1], 3, v[22:23]
	v_add_co_u32 v0, vcc_lo, s8, v0
	v_add_co_ci_u32_e32 v1, vcc_lo, s9, v1, vcc_lo
	v_add_co_u32 v0, vcc_lo, 0x800, v0
	v_add_co_ci_u32_e32 v1, vcc_lo, 0, v1, vcc_lo
	global_load_dwordx4 v[0:3], v[0:1], off offset:1056
	s_waitcnt vmcnt(0)
	v_mul_f32_e32 v5, v21, v1
	v_mul_f32_e32 v1, v20, v1
	;; [unrolled: 1-line block ×4, first 2 shown]
	v_add_co_u32 v3, vcc_lo, 0x1000, v30
	v_fmac_f32_e32 v5, v20, v0
	v_fma_f32 v8, v21, v0, -v1
	v_fmac_f32_e32 v6, v18, v2
	v_fma_f32 v2, v19, v2, -v7
	v_add_co_ci_u32_e32 v4, vcc_lo, 0, v31, vcc_lo
	v_add_f32_e32 v9, v16, v5
	v_add_f32_e32 v7, v5, v6
	;; [unrolled: 1-line block ×3, first 2 shown]
	v_sub_f32_e32 v11, v8, v2
	v_add_f32_e32 v8, v17, v8
	v_sub_f32_e32 v12, v5, v6
	v_fmac_f32_e32 v16, -0.5, v7
	v_fmac_f32_e32 v17, -0.5, v10
	v_add_co_u32 v0, vcc_lo, 0x2000, v30
	v_add_f32_e32 v5, v9, v6
	v_add_f32_e32 v6, v8, v2
	v_fmamk_f32 v7, v11, 0xbf5db3d7, v16
	v_fmamk_f32 v8, v12, 0x3f5db3d7, v17
	v_add_co_ci_u32_e32 v1, vcc_lo, 0, v31, vcc_lo
	v_fmac_f32_e32 v16, 0x3f5db3d7, v11
	v_fmac_f32_e32 v17, 0xbf5db3d7, v12
	global_store_dwordx2 v[25:26], v[5:6], off offset:760
	global_store_dwordx2 v[3:4], v[7:8], off offset:1832
	;; [unrolled: 1-line block ×3, first 2 shown]
.LBB0_24:
	s_endpgm
	.section	.rodata,"a",@progbits
	.p2align	6, 0x0
	.amdhsa_kernel fft_rtc_back_len1170_factors_2_13_3_5_3_wgs_117_tpt_117_sp_ip_CI_unitstride_sbrr_dirReg
		.amdhsa_group_segment_fixed_size 0
		.amdhsa_private_segment_fixed_size 0
		.amdhsa_kernarg_size 88
		.amdhsa_user_sgpr_count 6
		.amdhsa_user_sgpr_private_segment_buffer 1
		.amdhsa_user_sgpr_dispatch_ptr 0
		.amdhsa_user_sgpr_queue_ptr 0
		.amdhsa_user_sgpr_kernarg_segment_ptr 1
		.amdhsa_user_sgpr_dispatch_id 0
		.amdhsa_user_sgpr_flat_scratch_init 0
		.amdhsa_user_sgpr_private_segment_size 0
		.amdhsa_wavefront_size32 1
		.amdhsa_uses_dynamic_stack 0
		.amdhsa_system_sgpr_private_segment_wavefront_offset 0
		.amdhsa_system_sgpr_workgroup_id_x 1
		.amdhsa_system_sgpr_workgroup_id_y 0
		.amdhsa_system_sgpr_workgroup_id_z 0
		.amdhsa_system_sgpr_workgroup_info 0
		.amdhsa_system_vgpr_workitem_id 0
		.amdhsa_next_free_vgpr 129
		.amdhsa_next_free_sgpr 21
		.amdhsa_reserve_vcc 1
		.amdhsa_reserve_flat_scratch 0
		.amdhsa_float_round_mode_32 0
		.amdhsa_float_round_mode_16_64 0
		.amdhsa_float_denorm_mode_32 3
		.amdhsa_float_denorm_mode_16_64 3
		.amdhsa_dx10_clamp 1
		.amdhsa_ieee_mode 1
		.amdhsa_fp16_overflow 0
		.amdhsa_workgroup_processor_mode 1
		.amdhsa_memory_ordered 1
		.amdhsa_forward_progress 0
		.amdhsa_shared_vgpr_count 0
		.amdhsa_exception_fp_ieee_invalid_op 0
		.amdhsa_exception_fp_denorm_src 0
		.amdhsa_exception_fp_ieee_div_zero 0
		.amdhsa_exception_fp_ieee_overflow 0
		.amdhsa_exception_fp_ieee_underflow 0
		.amdhsa_exception_fp_ieee_inexact 0
		.amdhsa_exception_int_div_zero 0
	.end_amdhsa_kernel
	.text
.Lfunc_end0:
	.size	fft_rtc_back_len1170_factors_2_13_3_5_3_wgs_117_tpt_117_sp_ip_CI_unitstride_sbrr_dirReg, .Lfunc_end0-fft_rtc_back_len1170_factors_2_13_3_5_3_wgs_117_tpt_117_sp_ip_CI_unitstride_sbrr_dirReg
                                        ; -- End function
	.section	.AMDGPU.csdata,"",@progbits
; Kernel info:
; codeLenInByte = 8380
; NumSgprs: 23
; NumVgprs: 129
; ScratchSize: 0
; MemoryBound: 0
; FloatMode: 240
; IeeeMode: 1
; LDSByteSize: 0 bytes/workgroup (compile time only)
; SGPRBlocks: 2
; VGPRBlocks: 16
; NumSGPRsForWavesPerEU: 23
; NumVGPRsForWavesPerEU: 129
; Occupancy: 7
; WaveLimiterHint : 1
; COMPUTE_PGM_RSRC2:SCRATCH_EN: 0
; COMPUTE_PGM_RSRC2:USER_SGPR: 6
; COMPUTE_PGM_RSRC2:TRAP_HANDLER: 0
; COMPUTE_PGM_RSRC2:TGID_X_EN: 1
; COMPUTE_PGM_RSRC2:TGID_Y_EN: 0
; COMPUTE_PGM_RSRC2:TGID_Z_EN: 0
; COMPUTE_PGM_RSRC2:TIDIG_COMP_CNT: 0
	.text
	.p2alignl 6, 3214868480
	.fill 48, 4, 3214868480
	.type	__hip_cuid_36e642adc8dc66e8,@object ; @__hip_cuid_36e642adc8dc66e8
	.section	.bss,"aw",@nobits
	.globl	__hip_cuid_36e642adc8dc66e8
__hip_cuid_36e642adc8dc66e8:
	.byte	0                               ; 0x0
	.size	__hip_cuid_36e642adc8dc66e8, 1

	.ident	"AMD clang version 19.0.0git (https://github.com/RadeonOpenCompute/llvm-project roc-6.4.0 25133 c7fe45cf4b819c5991fe208aaa96edf142730f1d)"
	.section	".note.GNU-stack","",@progbits
	.addrsig
	.addrsig_sym __hip_cuid_36e642adc8dc66e8
	.amdgpu_metadata
---
amdhsa.kernels:
  - .args:
      - .actual_access:  read_only
        .address_space:  global
        .offset:         0
        .size:           8
        .value_kind:     global_buffer
      - .offset:         8
        .size:           8
        .value_kind:     by_value
      - .actual_access:  read_only
        .address_space:  global
        .offset:         16
        .size:           8
        .value_kind:     global_buffer
      - .actual_access:  read_only
        .address_space:  global
        .offset:         24
        .size:           8
        .value_kind:     global_buffer
      - .offset:         32
        .size:           8
        .value_kind:     by_value
      - .actual_access:  read_only
        .address_space:  global
        .offset:         40
        .size:           8
        .value_kind:     global_buffer
      - .actual_access:  read_only
        .address_space:  global
        .offset:         48
        .size:           8
        .value_kind:     global_buffer
      - .offset:         56
        .size:           4
        .value_kind:     by_value
      - .actual_access:  read_only
        .address_space:  global
        .offset:         64
        .size:           8
        .value_kind:     global_buffer
      - .actual_access:  read_only
        .address_space:  global
        .offset:         72
        .size:           8
        .value_kind:     global_buffer
      - .address_space:  global
        .offset:         80
        .size:           8
        .value_kind:     global_buffer
    .group_segment_fixed_size: 0
    .kernarg_segment_align: 8
    .kernarg_segment_size: 88
    .language:       OpenCL C
    .language_version:
      - 2
      - 0
    .max_flat_workgroup_size: 117
    .name:           fft_rtc_back_len1170_factors_2_13_3_5_3_wgs_117_tpt_117_sp_ip_CI_unitstride_sbrr_dirReg
    .private_segment_fixed_size: 0
    .sgpr_count:     23
    .sgpr_spill_count: 0
    .symbol:         fft_rtc_back_len1170_factors_2_13_3_5_3_wgs_117_tpt_117_sp_ip_CI_unitstride_sbrr_dirReg.kd
    .uniform_work_group_size: 1
    .uses_dynamic_stack: false
    .vgpr_count:     129
    .vgpr_spill_count: 0
    .wavefront_size: 32
    .workgroup_processor_mode: 1
amdhsa.target:   amdgcn-amd-amdhsa--gfx1030
amdhsa.version:
  - 1
  - 2
...

	.end_amdgpu_metadata
